;; amdgpu-corpus repo=ROCm/rocFFT kind=compiled arch=gfx1201 opt=O3
	.text
	.amdgcn_target "amdgcn-amd-amdhsa--gfx1201"
	.amdhsa_code_object_version 6
	.protected	fft_rtc_fwd_len1664_factors_13_2_2_4_2_2_2_wgs_208_tpt_208_halfLds_dp_ip_CI_unitstride_sbrr_C2R_dirReg ; -- Begin function fft_rtc_fwd_len1664_factors_13_2_2_4_2_2_2_wgs_208_tpt_208_halfLds_dp_ip_CI_unitstride_sbrr_C2R_dirReg
	.globl	fft_rtc_fwd_len1664_factors_13_2_2_4_2_2_2_wgs_208_tpt_208_halfLds_dp_ip_CI_unitstride_sbrr_C2R_dirReg
	.p2align	8
	.type	fft_rtc_fwd_len1664_factors_13_2_2_4_2_2_2_wgs_208_tpt_208_halfLds_dp_ip_CI_unitstride_sbrr_C2R_dirReg,@function
fft_rtc_fwd_len1664_factors_13_2_2_4_2_2_2_wgs_208_tpt_208_halfLds_dp_ip_CI_unitstride_sbrr_C2R_dirReg: ; @fft_rtc_fwd_len1664_factors_13_2_2_4_2_2_2_wgs_208_tpt_208_halfLds_dp_ip_CI_unitstride_sbrr_C2R_dirReg
; %bb.0:
	s_clause 0x2
	s_load_b128 s[4:7], s[0:1], 0x0
	s_load_b64 s[8:9], s[0:1], 0x50
	s_load_b64 s[10:11], s[0:1], 0x18
	v_mul_u32_u24_e32 v1, 0x13c, v0
	v_mov_b32_e32 v3, 0
	s_delay_alu instid0(VALU_DEP_2) | instskip(NEXT) | instid1(VALU_DEP_1)
	v_lshrrev_b32_e32 v1, 16, v1
	v_add_nc_u32_e32 v5, ttmp9, v1
	v_mov_b32_e32 v1, 0
	v_mov_b32_e32 v2, 0
	;; [unrolled: 1-line block ×3, first 2 shown]
	s_wait_kmcnt 0x0
	v_cmp_lt_u64_e64 s2, s[6:7], 2
	s_delay_alu instid0(VALU_DEP_1)
	s_and_b32 vcc_lo, exec_lo, s2
	s_cbranch_vccnz .LBB0_8
; %bb.1:
	s_load_b64 s[2:3], s[0:1], 0x10
	v_mov_b32_e32 v1, 0
	v_mov_b32_e32 v2, 0
	s_add_nc_u64 s[12:13], s[10:11], 8
	s_mov_b64 s[14:15], 1
	s_wait_kmcnt 0x0
	s_add_nc_u64 s[16:17], s[2:3], 8
	s_mov_b32 s3, 0
.LBB0_2:                                ; =>This Inner Loop Header: Depth=1
	s_load_b64 s[18:19], s[16:17], 0x0
                                        ; implicit-def: $vgpr7_vgpr8
	s_mov_b32 s2, exec_lo
	s_wait_kmcnt 0x0
	v_or_b32_e32 v4, s19, v6
	s_delay_alu instid0(VALU_DEP_1)
	v_cmpx_ne_u64_e32 0, v[3:4]
	s_wait_alu 0xfffe
	s_xor_b32 s20, exec_lo, s2
	s_cbranch_execz .LBB0_4
; %bb.3:                                ;   in Loop: Header=BB0_2 Depth=1
	s_cvt_f32_u32 s2, s18
	s_cvt_f32_u32 s21, s19
	s_sub_nc_u64 s[24:25], 0, s[18:19]
	s_wait_alu 0xfffe
	s_delay_alu instid0(SALU_CYCLE_1) | instskip(SKIP_1) | instid1(SALU_CYCLE_2)
	s_fmamk_f32 s2, s21, 0x4f800000, s2
	s_wait_alu 0xfffe
	v_s_rcp_f32 s2, s2
	s_delay_alu instid0(TRANS32_DEP_1) | instskip(SKIP_1) | instid1(SALU_CYCLE_2)
	s_mul_f32 s2, s2, 0x5f7ffffc
	s_wait_alu 0xfffe
	s_mul_f32 s21, s2, 0x2f800000
	s_wait_alu 0xfffe
	s_delay_alu instid0(SALU_CYCLE_2) | instskip(SKIP_1) | instid1(SALU_CYCLE_2)
	s_trunc_f32 s21, s21
	s_wait_alu 0xfffe
	s_fmamk_f32 s2, s21, 0xcf800000, s2
	s_cvt_u32_f32 s23, s21
	s_wait_alu 0xfffe
	s_delay_alu instid0(SALU_CYCLE_1) | instskip(SKIP_1) | instid1(SALU_CYCLE_2)
	s_cvt_u32_f32 s22, s2
	s_wait_alu 0xfffe
	s_mul_u64 s[26:27], s[24:25], s[22:23]
	s_wait_alu 0xfffe
	s_mul_hi_u32 s29, s22, s27
	s_mul_i32 s28, s22, s27
	s_mul_hi_u32 s2, s22, s26
	s_mul_i32 s30, s23, s26
	s_wait_alu 0xfffe
	s_add_nc_u64 s[28:29], s[2:3], s[28:29]
	s_mul_hi_u32 s21, s23, s26
	s_mul_hi_u32 s31, s23, s27
	s_add_co_u32 s2, s28, s30
	s_wait_alu 0xfffe
	s_add_co_ci_u32 s2, s29, s21
	s_mul_i32 s26, s23, s27
	s_add_co_ci_u32 s27, s31, 0
	s_wait_alu 0xfffe
	s_add_nc_u64 s[26:27], s[2:3], s[26:27]
	s_wait_alu 0xfffe
	v_add_co_u32 v4, s2, s22, s26
	s_delay_alu instid0(VALU_DEP_1) | instskip(SKIP_1) | instid1(VALU_DEP_1)
	s_cmp_lg_u32 s2, 0
	s_add_co_ci_u32 s23, s23, s27
	v_readfirstlane_b32 s22, v4
	s_wait_alu 0xfffe
	s_delay_alu instid0(VALU_DEP_1)
	s_mul_u64 s[24:25], s[24:25], s[22:23]
	s_wait_alu 0xfffe
	s_mul_hi_u32 s27, s22, s25
	s_mul_i32 s26, s22, s25
	s_mul_hi_u32 s2, s22, s24
	s_mul_i32 s28, s23, s24
	s_wait_alu 0xfffe
	s_add_nc_u64 s[26:27], s[2:3], s[26:27]
	s_mul_hi_u32 s21, s23, s24
	s_mul_hi_u32 s22, s23, s25
	s_wait_alu 0xfffe
	s_add_co_u32 s2, s26, s28
	s_add_co_ci_u32 s2, s27, s21
	s_mul_i32 s24, s23, s25
	s_add_co_ci_u32 s25, s22, 0
	s_wait_alu 0xfffe
	s_add_nc_u64 s[24:25], s[2:3], s[24:25]
	s_wait_alu 0xfffe
	v_add_co_u32 v4, s2, v4, s24
	s_delay_alu instid0(VALU_DEP_1) | instskip(SKIP_1) | instid1(VALU_DEP_1)
	s_cmp_lg_u32 s2, 0
	s_add_co_ci_u32 s2, s23, s25
	v_mul_hi_u32 v13, v5, v4
	s_wait_alu 0xfffe
	v_mad_co_u64_u32 v[7:8], null, v5, s2, 0
	v_mad_co_u64_u32 v[9:10], null, v6, v4, 0
	;; [unrolled: 1-line block ×3, first 2 shown]
	s_delay_alu instid0(VALU_DEP_3) | instskip(SKIP_1) | instid1(VALU_DEP_4)
	v_add_co_u32 v4, vcc_lo, v13, v7
	s_wait_alu 0xfffd
	v_add_co_ci_u32_e32 v7, vcc_lo, 0, v8, vcc_lo
	s_delay_alu instid0(VALU_DEP_2) | instskip(SKIP_1) | instid1(VALU_DEP_2)
	v_add_co_u32 v4, vcc_lo, v4, v9
	s_wait_alu 0xfffd
	v_add_co_ci_u32_e32 v4, vcc_lo, v7, v10, vcc_lo
	s_wait_alu 0xfffd
	v_add_co_ci_u32_e32 v7, vcc_lo, 0, v12, vcc_lo
	s_delay_alu instid0(VALU_DEP_2) | instskip(SKIP_1) | instid1(VALU_DEP_2)
	v_add_co_u32 v4, vcc_lo, v4, v11
	s_wait_alu 0xfffd
	v_add_co_ci_u32_e32 v9, vcc_lo, 0, v7, vcc_lo
	s_delay_alu instid0(VALU_DEP_2) | instskip(SKIP_1) | instid1(VALU_DEP_3)
	v_mul_lo_u32 v10, s19, v4
	v_mad_co_u64_u32 v[7:8], null, s18, v4, 0
	v_mul_lo_u32 v11, s18, v9
	s_delay_alu instid0(VALU_DEP_2) | instskip(NEXT) | instid1(VALU_DEP_2)
	v_sub_co_u32 v7, vcc_lo, v5, v7
	v_add3_u32 v8, v8, v11, v10
	s_delay_alu instid0(VALU_DEP_1) | instskip(SKIP_1) | instid1(VALU_DEP_1)
	v_sub_nc_u32_e32 v10, v6, v8
	s_wait_alu 0xfffd
	v_subrev_co_ci_u32_e64 v10, s2, s19, v10, vcc_lo
	v_add_co_u32 v11, s2, v4, 2
	s_wait_alu 0xf1ff
	v_add_co_ci_u32_e64 v12, s2, 0, v9, s2
	v_sub_co_u32 v13, s2, v7, s18
	v_sub_co_ci_u32_e32 v8, vcc_lo, v6, v8, vcc_lo
	s_wait_alu 0xf1ff
	v_subrev_co_ci_u32_e64 v10, s2, 0, v10, s2
	s_delay_alu instid0(VALU_DEP_3) | instskip(NEXT) | instid1(VALU_DEP_3)
	v_cmp_le_u32_e32 vcc_lo, s18, v13
	v_cmp_eq_u32_e64 s2, s19, v8
	s_wait_alu 0xfffd
	v_cndmask_b32_e64 v13, 0, -1, vcc_lo
	v_cmp_le_u32_e32 vcc_lo, s19, v10
	s_wait_alu 0xfffd
	v_cndmask_b32_e64 v14, 0, -1, vcc_lo
	v_cmp_le_u32_e32 vcc_lo, s18, v7
	;; [unrolled: 3-line block ×3, first 2 shown]
	s_wait_alu 0xfffd
	v_cndmask_b32_e64 v15, 0, -1, vcc_lo
	v_cmp_eq_u32_e32 vcc_lo, s19, v10
	s_wait_alu 0xf1ff
	s_delay_alu instid0(VALU_DEP_2)
	v_cndmask_b32_e64 v7, v15, v7, s2
	s_wait_alu 0xfffd
	v_cndmask_b32_e32 v10, v14, v13, vcc_lo
	v_add_co_u32 v13, vcc_lo, v4, 1
	s_wait_alu 0xfffd
	v_add_co_ci_u32_e32 v14, vcc_lo, 0, v9, vcc_lo
	s_delay_alu instid0(VALU_DEP_3) | instskip(SKIP_2) | instid1(VALU_DEP_3)
	v_cmp_ne_u32_e32 vcc_lo, 0, v10
	s_wait_alu 0xfffd
	v_cndmask_b32_e32 v10, v13, v11, vcc_lo
	v_cndmask_b32_e32 v8, v14, v12, vcc_lo
	v_cmp_ne_u32_e32 vcc_lo, 0, v7
	s_wait_alu 0xfffd
	s_delay_alu instid0(VALU_DEP_2)
	v_dual_cndmask_b32 v7, v4, v10 :: v_dual_cndmask_b32 v8, v9, v8
.LBB0_4:                                ;   in Loop: Header=BB0_2 Depth=1
	s_wait_alu 0xfffe
	s_and_not1_saveexec_b32 s2, s20
	s_cbranch_execz .LBB0_6
; %bb.5:                                ;   in Loop: Header=BB0_2 Depth=1
	v_cvt_f32_u32_e32 v4, s18
	s_sub_co_i32 s20, 0, s18
	s_delay_alu instid0(VALU_DEP_1) | instskip(NEXT) | instid1(TRANS32_DEP_1)
	v_rcp_iflag_f32_e32 v4, v4
	v_mul_f32_e32 v4, 0x4f7ffffe, v4
	s_delay_alu instid0(VALU_DEP_1) | instskip(SKIP_1) | instid1(VALU_DEP_1)
	v_cvt_u32_f32_e32 v4, v4
	s_wait_alu 0xfffe
	v_mul_lo_u32 v7, s20, v4
	s_delay_alu instid0(VALU_DEP_1) | instskip(NEXT) | instid1(VALU_DEP_1)
	v_mul_hi_u32 v7, v4, v7
	v_add_nc_u32_e32 v4, v4, v7
	s_delay_alu instid0(VALU_DEP_1) | instskip(NEXT) | instid1(VALU_DEP_1)
	v_mul_hi_u32 v4, v5, v4
	v_mul_lo_u32 v7, v4, s18
	v_add_nc_u32_e32 v8, 1, v4
	s_delay_alu instid0(VALU_DEP_2) | instskip(NEXT) | instid1(VALU_DEP_1)
	v_sub_nc_u32_e32 v7, v5, v7
	v_subrev_nc_u32_e32 v9, s18, v7
	v_cmp_le_u32_e32 vcc_lo, s18, v7
	s_wait_alu 0xfffd
	s_delay_alu instid0(VALU_DEP_2) | instskip(NEXT) | instid1(VALU_DEP_1)
	v_dual_cndmask_b32 v7, v7, v9 :: v_dual_cndmask_b32 v4, v4, v8
	v_cmp_le_u32_e32 vcc_lo, s18, v7
	s_delay_alu instid0(VALU_DEP_2) | instskip(SKIP_1) | instid1(VALU_DEP_1)
	v_add_nc_u32_e32 v8, 1, v4
	s_wait_alu 0xfffd
	v_dual_cndmask_b32 v7, v4, v8 :: v_dual_mov_b32 v8, v3
.LBB0_6:                                ;   in Loop: Header=BB0_2 Depth=1
	s_wait_alu 0xfffe
	s_or_b32 exec_lo, exec_lo, s2
	s_load_b64 s[20:21], s[12:13], 0x0
	s_delay_alu instid0(VALU_DEP_1)
	v_mul_lo_u32 v4, v8, s18
	v_mul_lo_u32 v11, v7, s19
	v_mad_co_u64_u32 v[9:10], null, v7, s18, 0
	s_add_nc_u64 s[14:15], s[14:15], 1
	s_add_nc_u64 s[12:13], s[12:13], 8
	s_wait_alu 0xfffe
	v_cmp_ge_u64_e64 s2, s[14:15], s[6:7]
	s_add_nc_u64 s[16:17], s[16:17], 8
	s_delay_alu instid0(VALU_DEP_2) | instskip(NEXT) | instid1(VALU_DEP_3)
	v_add3_u32 v4, v10, v11, v4
	v_sub_co_u32 v5, vcc_lo, v5, v9
	s_wait_alu 0xfffd
	s_delay_alu instid0(VALU_DEP_2) | instskip(SKIP_3) | instid1(VALU_DEP_2)
	v_sub_co_ci_u32_e32 v4, vcc_lo, v6, v4, vcc_lo
	s_and_b32 vcc_lo, exec_lo, s2
	s_wait_kmcnt 0x0
	v_mul_lo_u32 v6, s21, v5
	v_mul_lo_u32 v4, s20, v4
	v_mad_co_u64_u32 v[1:2], null, s20, v5, v[1:2]
	s_delay_alu instid0(VALU_DEP_1)
	v_add3_u32 v2, v6, v2, v4
	s_wait_alu 0xfffe
	s_cbranch_vccnz .LBB0_9
; %bb.7:                                ;   in Loop: Header=BB0_2 Depth=1
	v_dual_mov_b32 v5, v7 :: v_dual_mov_b32 v6, v8
	s_branch .LBB0_2
.LBB0_8:
	v_dual_mov_b32 v8, v6 :: v_dual_mov_b32 v7, v5
.LBB0_9:
	s_lshl_b64 s[2:3], s[6:7], 3
	v_mul_hi_u32 v3, 0x13b13b2, v0
	s_wait_alu 0xfffe
	s_add_nc_u64 s[2:3], s[10:11], s[2:3]
	s_load_b64 s[2:3], s[2:3], 0x0
	s_load_b64 s[0:1], s[0:1], 0x20
	s_delay_alu instid0(VALU_DEP_1)
	v_mul_u32_u24_e32 v3, 0xd0, v3
	s_wait_kmcnt 0x0
	v_mul_lo_u32 v4, s2, v8
	v_mul_lo_u32 v5, s3, v7
	v_mad_co_u64_u32 v[1:2], null, s2, v7, v[1:2]
	v_cmp_gt_u64_e32 vcc_lo, s[0:1], v[7:8]
	s_delay_alu instid0(VALU_DEP_2) | instskip(SKIP_2) | instid1(VALU_DEP_3)
	v_add3_u32 v2, v5, v2, v4
	v_sub_nc_u32_e32 v4, v0, v3
	v_mov_b32_e32 v5, 0
	v_lshlrev_b64_e32 v[54:55], 4, v[1:2]
	s_delay_alu instid0(VALU_DEP_3)
	v_mov_b32_e32 v52, v4
	s_and_saveexec_b32 s1, vcc_lo
	s_cbranch_execz .LBB0_13
; %bb.10:
	v_lshlrev_b64_e32 v[2:3], 4, v[4:5]
	s_delay_alu instid0(VALU_DEP_3) | instskip(SKIP_3) | instid1(VALU_DEP_3)
	v_add_co_u32 v0, s0, s8, v54
	s_wait_alu 0xf1ff
	v_add_co_ci_u32_e64 v1, s0, s9, v55, s0
	v_lshl_add_u32 v38, v4, 4, 0
	v_add_co_u32 v2, s0, v0, v2
	s_wait_alu 0xf1ff
	s_delay_alu instid0(VALU_DEP_3)
	v_add_co_ci_u32_e64 v3, s0, v1, v3, s0
	s_mov_b32 s2, exec_lo
	s_clause 0x7
	global_load_b128 v[6:9], v[2:3], off
	global_load_b128 v[10:13], v[2:3], off offset:3328
	global_load_b128 v[14:17], v[2:3], off offset:6656
	;; [unrolled: 1-line block ×7, first 2 shown]
	v_dual_mov_b32 v2, v4 :: v_dual_mov_b32 v3, v5
	s_wait_loadcnt 0x7
	ds_store_b128 v38, v[6:9]
	s_wait_loadcnt 0x6
	ds_store_b128 v38, v[10:13] offset:3328
	s_wait_loadcnt 0x5
	ds_store_b128 v38, v[14:17] offset:6656
	s_wait_loadcnt 0x4
	ds_store_b128 v38, v[18:21] offset:9984
	s_wait_loadcnt 0x3
	ds_store_b128 v38, v[22:25] offset:13312
	s_wait_loadcnt 0x2
	ds_store_b128 v38, v[26:29] offset:16640
	s_wait_loadcnt 0x1
	ds_store_b128 v38, v[30:33] offset:19968
	s_wait_loadcnt 0x0
	ds_store_b128 v38, v[34:37] offset:23296
	v_cmpx_eq_u32_e32 0xcf, v4
	s_cbranch_execz .LBB0_12
; %bb.11:
	global_load_b128 v[5:8], v[0:1], off offset:26624
	v_mov_b32_e32 v2, 0xcf
	v_dual_mov_b32 v0, 0 :: v_dual_mov_b32 v3, 0
	v_mov_b32_e32 v4, 0xcf
	s_wait_loadcnt 0x0
	ds_store_b128 v0, v[5:8] offset:26624
.LBB0_12:
	s_wait_alu 0xfffe
	s_or_b32 exec_lo, exec_lo, s2
	v_dual_mov_b32 v52, v4 :: v_dual_mov_b32 v5, v3
	v_mov_b32_e32 v4, v2
.LBB0_13:
	s_wait_alu 0xfffe
	s_or_b32 exec_lo, exec_lo, s1
	s_delay_alu instid0(VALU_DEP_1)
	v_lshlrev_b32_e32 v0, 4, v52
	global_wb scope:SCOPE_SE
	s_wait_dscnt 0x0
	s_barrier_signal -1
	s_barrier_wait -1
	global_inv scope:SCOPE_SE
	v_add_nc_u32_e32 v72, 0, v0
	v_sub_nc_u32_e32 v10, 0, v0
	v_lshlrev_b64_e32 v[58:59], 4, v[4:5]
	s_mov_b32 s1, exec_lo
	ds_load_b64 v[6:7], v72
	ds_load_b64 v[8:9], v10 offset:26624
	s_wait_dscnt 0x0
	v_add_f64_e32 v[0:1], v[6:7], v[8:9]
	v_add_f64_e64 v[2:3], v[6:7], -v[8:9]
	v_cmpx_ne_u32_e32 0, v52
	s_wait_alu 0xfffe
	s_xor_b32 s1, exec_lo, s1
	s_cbranch_execz .LBB0_15
; %bb.14:
	v_add_co_u32 v0, s0, s4, v58
	s_wait_alu 0xf1ff
	v_add_co_ci_u32_e64 v1, s0, s5, v59, s0
	v_add_f64_e32 v[13:14], v[6:7], v[8:9]
	v_add_f64_e64 v[8:9], v[6:7], -v[8:9]
	global_load_b128 v[2:5], v[0:1], off offset:26416
	ds_load_b64 v[0:1], v10 offset:26632
	ds_load_b64 v[11:12], v72 offset:8
	s_wait_dscnt 0x0
	v_add_f64_e32 v[6:7], v[0:1], v[11:12]
	v_add_f64_e64 v[0:1], v[11:12], -v[0:1]
	s_wait_loadcnt 0x0
	v_fma_f64 v[11:12], v[8:9], v[4:5], v[13:14]
	v_fma_f64 v[13:14], -v[8:9], v[4:5], v[13:14]
	s_delay_alu instid0(VALU_DEP_3) | instskip(SKIP_1) | instid1(VALU_DEP_4)
	v_fma_f64 v[15:16], v[6:7], v[4:5], -v[0:1]
	v_fma_f64 v[17:18], v[6:7], v[4:5], v[0:1]
	v_fma_f64 v[0:1], -v[6:7], v[2:3], v[11:12]
	s_delay_alu instid0(VALU_DEP_4) | instskip(NEXT) | instid1(VALU_DEP_4)
	v_fma_f64 v[4:5], v[6:7], v[2:3], v[13:14]
	v_fma_f64 v[6:7], v[8:9], v[2:3], v[15:16]
	s_delay_alu instid0(VALU_DEP_4)
	v_fma_f64 v[2:3], v[8:9], v[2:3], v[17:18]
	ds_store_b128 v10, v[4:7] offset:26624
.LBB0_15:
	s_wait_alu 0xfffe
	s_and_not1_saveexec_b32 s0, s1
	s_cbranch_execz .LBB0_17
; %bb.16:
	v_mov_b32_e32 v8, 0
	ds_load_b128 v[4:7], v8 offset:13312
	s_wait_dscnt 0x0
	v_add_f64_e32 v[4:5], v[4:5], v[4:5]
	v_mul_f64_e32 v[6:7], -2.0, v[6:7]
	ds_store_b128 v8, v[4:7] offset:13312
.LBB0_17:
	s_wait_alu 0xfffe
	s_or_b32 exec_lo, exec_lo, s0
	v_mov_b32_e32 v53, 0
	s_add_nc_u64 s[0:1], s[4:5], 0x6730
	s_mov_b32 s33, exec_lo
	s_delay_alu instid0(VALU_DEP_1) | instskip(SKIP_1) | instid1(VALU_DEP_1)
	v_lshlrev_b64_e32 v[56:57], 4, v[52:53]
	s_wait_alu 0xfffe
	v_add_co_u32 v8, s0, s0, v56
	s_wait_alu 0xf1ff
	s_delay_alu instid0(VALU_DEP_2)
	v_add_co_ci_u32_e64 v9, s0, s1, v57, s0
	s_clause 0x1
	global_load_b128 v[4:7], v[8:9], off offset:3328
	global_load_b128 v[11:14], v[8:9], off offset:6656
	ds_store_b128 v72, v[0:3]
	ds_load_b128 v[0:3], v72 offset:3328
	ds_load_b128 v[15:18], v10 offset:23296
	global_load_b128 v[19:22], v[8:9], off offset:9984
	s_wait_dscnt 0x0
	v_add_f64_e32 v[8:9], v[0:1], v[15:16]
	v_add_f64_e32 v[23:24], v[17:18], v[2:3]
	v_add_f64_e64 v[15:16], v[0:1], -v[15:16]
	v_add_f64_e64 v[0:1], v[2:3], -v[17:18]
	s_wait_loadcnt 0x2
	s_delay_alu instid0(VALU_DEP_2) | instskip(NEXT) | instid1(VALU_DEP_2)
	v_fma_f64 v[2:3], v[15:16], v[6:7], v[8:9]
	v_fma_f64 v[17:18], v[23:24], v[6:7], v[0:1]
	v_fma_f64 v[8:9], -v[15:16], v[6:7], v[8:9]
	v_fma_f64 v[25:26], v[23:24], v[6:7], -v[0:1]
	s_delay_alu instid0(VALU_DEP_4) | instskip(NEXT) | instid1(VALU_DEP_4)
	v_fma_f64 v[0:1], -v[23:24], v[4:5], v[2:3]
	v_fma_f64 v[2:3], v[15:16], v[4:5], v[17:18]
	s_delay_alu instid0(VALU_DEP_4) | instskip(NEXT) | instid1(VALU_DEP_4)
	v_fma_f64 v[6:7], v[23:24], v[4:5], v[8:9]
	v_fma_f64 v[8:9], v[15:16], v[4:5], v[25:26]
	ds_store_b128 v72, v[0:3] offset:3328
	ds_store_b128 v10, v[6:9] offset:23296
	ds_load_b128 v[0:3], v72 offset:6656
	ds_load_b128 v[4:7], v10 offset:19968
	s_wait_dscnt 0x0
	v_add_f64_e32 v[8:9], v[0:1], v[4:5]
	v_add_f64_e32 v[15:16], v[6:7], v[2:3]
	v_add_f64_e64 v[17:18], v[0:1], -v[4:5]
	v_add_f64_e64 v[0:1], v[2:3], -v[6:7]
	s_wait_loadcnt 0x1
	s_delay_alu instid0(VALU_DEP_2) | instskip(NEXT) | instid1(VALU_DEP_2)
	v_fma_f64 v[2:3], v[17:18], v[13:14], v[8:9]
	v_fma_f64 v[4:5], v[15:16], v[13:14], v[0:1]
	v_fma_f64 v[6:7], -v[17:18], v[13:14], v[8:9]
	v_fma_f64 v[8:9], v[15:16], v[13:14], -v[0:1]
	s_delay_alu instid0(VALU_DEP_4) | instskip(NEXT) | instid1(VALU_DEP_4)
	v_fma_f64 v[0:1], -v[15:16], v[11:12], v[2:3]
	v_fma_f64 v[2:3], v[17:18], v[11:12], v[4:5]
	s_delay_alu instid0(VALU_DEP_4) | instskip(NEXT) | instid1(VALU_DEP_4)
	v_fma_f64 v[4:5], v[15:16], v[11:12], v[6:7]
	v_fma_f64 v[6:7], v[17:18], v[11:12], v[8:9]
	ds_store_b128 v72, v[0:3] offset:6656
	ds_store_b128 v10, v[4:7] offset:19968
	ds_load_b128 v[0:3], v72 offset:9984
	ds_load_b128 v[4:7], v10 offset:16640
	s_wait_dscnt 0x0
	v_add_f64_e32 v[8:9], v[0:1], v[4:5]
	v_add_f64_e32 v[11:12], v[6:7], v[2:3]
	v_add_f64_e64 v[13:14], v[0:1], -v[4:5]
	v_add_f64_e64 v[0:1], v[2:3], -v[6:7]
	s_wait_loadcnt 0x0
	s_delay_alu instid0(VALU_DEP_2) | instskip(NEXT) | instid1(VALU_DEP_2)
	v_fma_f64 v[2:3], v[13:14], v[21:22], v[8:9]
	v_fma_f64 v[4:5], v[11:12], v[21:22], v[0:1]
	v_fma_f64 v[6:7], -v[13:14], v[21:22], v[8:9]
	v_fma_f64 v[8:9], v[11:12], v[21:22], -v[0:1]
	s_delay_alu instid0(VALU_DEP_4) | instskip(NEXT) | instid1(VALU_DEP_4)
	v_fma_f64 v[0:1], -v[11:12], v[19:20], v[2:3]
	v_fma_f64 v[2:3], v[13:14], v[19:20], v[4:5]
	s_delay_alu instid0(VALU_DEP_4) | instskip(NEXT) | instid1(VALU_DEP_4)
	v_fma_f64 v[4:5], v[11:12], v[19:20], v[6:7]
	v_fma_f64 v[6:7], v[13:14], v[19:20], v[8:9]
	ds_store_b128 v72, v[0:3] offset:9984
	ds_store_b128 v10, v[4:7] offset:16640
	global_wb scope:SCOPE_SE
	s_wait_dscnt 0x0
	s_barrier_signal -1
	s_barrier_wait -1
	global_inv scope:SCOPE_SE
	global_wb scope:SCOPE_SE
	s_barrier_signal -1
	s_barrier_wait -1
	global_inv scope:SCOPE_SE
	ds_load_b128 v[16:19], v72
	ds_load_b128 v[48:51], v72 offset:2048
	ds_load_b128 v[40:43], v72 offset:4096
	;; [unrolled: 1-line block ×12, first 2 shown]
	global_wb scope:SCOPE_SE
	s_wait_dscnt 0x0
	s_barrier_signal -1
	s_barrier_wait -1
	global_inv scope:SCOPE_SE
	v_cmpx_gt_u32_e32 0x80, v52
	s_cbranch_execz .LBB0_19
; %bb.18:
	v_add_f64_e32 v[60:61], v[18:19], v[50:51]
	v_add_f64_e32 v[62:63], v[16:17], v[48:49]
	;; [unrolled: 1-line block ×3, first 2 shown]
	v_add_f64_e64 v[89:90], v[36:37], -v[12:13]
	v_add_f64_e32 v[91:92], v[36:37], v[12:13]
	v_add_f64_e64 v[93:94], v[38:39], -v[14:15]
	v_add_f64_e32 v[73:74], v[50:51], v[2:3]
	v_add_f64_e64 v[75:76], v[50:51], -v[2:3]
	v_add_f64_e64 v[70:71], v[48:49], -v[0:1]
	v_add_f64_e32 v[81:82], v[48:49], v[0:1]
	v_add_f64_e32 v[83:84], v[42:43], v[6:7]
	v_add_f64_e32 v[68:69], v[34:35], v[22:23]
	v_add_f64_e32 v[48:49], v[32:33], v[20:21]
	v_add_f64_e64 v[85:86], v[42:43], -v[6:7]
	s_mov_b32 s6, 0xebaa3ed8
	s_mov_b32 s12, 0x66966769
	;; [unrolled: 1-line block ×24, first 2 shown]
	v_add_f64_e32 v[66:67], v[60:61], v[42:43]
	v_add_f64_e32 v[62:63], v[62:63], v[40:41]
	v_add_f64_e64 v[42:43], v[34:35], -v[22:23]
	s_mov_b32 s35, 0xbfedeba7
	s_mov_b32 s29, 0xbfe5384d
	;; [unrolled: 1-line block ×3, first 2 shown]
	s_wait_alu 0xfffe
	s_mov_b32 s22, s18
	s_mov_b32 s28, s24
	;; [unrolled: 1-line block ×3, first 2 shown]
	v_add_f64_e32 v[64:65], v[30:31], v[26:27]
	v_add_f64_e64 v[60:61], v[28:29], -v[24:25]
	v_add_f64_e32 v[50:51], v[28:29], v[24:25]
	v_add_f64_e32 v[95:96], v[46:47], v[10:11]
	v_mul_f64_e32 v[101:102], s[0:1], v[73:74]
	v_mul_f64_e32 v[103:104], s[6:7], v[73:74]
	;; [unrolled: 1-line block ×3, first 2 shown]
	s_wait_alu 0xfffe
	v_mul_f64_e32 v[107:108], s[22:23], v[75:76]
	v_mul_f64_e32 v[109:110], s[28:29], v[75:76]
	;; [unrolled: 1-line block ×6, first 2 shown]
	s_mov_b32 s37, 0x3fefc445
	s_mov_b32 s41, 0x3fea55e2
	;; [unrolled: 1-line block ×6, first 2 shown]
	v_add_f64_e64 v[97:98], v[44:45], -v[8:9]
	v_add_f64_e64 v[99:100], v[40:41], -v[4:5]
	v_add_f64_e32 v[40:41], v[40:41], v[4:5]
	v_mul_f64_e32 v[117:118], s[14:15], v[83:84]
	v_mul_f64_e32 v[119:120], s[6:7], v[83:84]
	;; [unrolled: 1-line block ×7, first 2 shown]
	v_add_f64_e32 v[77:78], v[66:67], v[46:47]
	v_add_f64_e32 v[79:80], v[62:63], v[44:45]
	v_add_f64_e64 v[66:67], v[32:33], -v[20:21]
	v_add_f64_e64 v[62:63], v[30:31], -v[26:27]
	v_add_f64_e64 v[46:47], v[46:47], -v[10:11]
	v_add_f64_e32 v[44:45], v[44:45], v[8:9]
	v_mul_f64_e32 v[129:130], s[36:37], v[85:86]
	v_mul_f64_e32 v[131:132], s[24:25], v[85:86]
	;; [unrolled: 1-line block ×14, first 2 shown]
	v_fma_f64 v[167:168], v[70:71], s[30:31], v[101:102]
	v_fma_f64 v[101:102], v[70:71], s[34:35], v[101:102]
	;; [unrolled: 1-line block ×7, first 2 shown]
	v_fma_f64 v[109:110], v[81:82], s[10:11], -v[109:110]
	v_fma_f64 v[177:178], v[81:82], s[0:1], v[111:112]
	v_fma_f64 v[111:112], v[81:82], s[0:1], -v[111:112]
	v_fma_f64 v[179:180], v[81:82], s[6:7], v[113:114]
	;; [unrolled: 2-line block ×5, first 2 shown]
	v_fma_f64 v[119:120], v[99:100], s[36:37], v[119:120]
	v_add_f64_e32 v[38:39], v[77:78], v[38:39]
	v_add_f64_e32 v[36:37], v[79:80], v[36:37]
	v_mul_f64_e32 v[77:78], s[2:3], v[73:74]
	v_mul_f64_e32 v[79:80], s[10:11], v[73:74]
	v_mul_f64_e32 v[73:74], s[14:15], v[73:74]
	v_mul_f64_e32 v[147:148], s[28:29], v[46:47]
	v_mul_f64_e32 v[149:150], s[26:27], v[46:47]
	v_mul_f64_e32 v[151:152], s[38:39], v[46:47]
	v_mul_f64_e32 v[153:154], s[30:31], v[46:47]
	v_mul_f64_e32 v[155:156], s[22:23], v[46:47]
	v_mul_f64_e32 v[46:47], s[12:13], v[46:47]
	v_fma_f64 v[187:188], v[99:100], s[28:29], v[121:122]
	v_fma_f64 v[121:122], v[99:100], s[24:25], v[121:122]
	;; [unrolled: 1-line block ×5, first 2 shown]
	v_fma_f64 v[129:130], v[40:41], s[6:7], -v[129:130]
	v_fma_f64 v[193:194], v[40:41], s[10:11], v[131:132]
	v_fma_f64 v[131:132], v[40:41], s[10:11], -v[131:132]
	v_fma_f64 v[195:196], v[40:41], s[2:3], v[133:134]
	;; [unrolled: 2-line block ×4, first 2 shown]
	v_fma_f64 v[201:202], v[97:98], s[40:41], v[139:140]
	v_fma_f64 v[139:140], v[97:98], s[26:27], v[139:140]
	;; [unrolled: 1-line block ×10, first 2 shown]
	v_add_f64_e32 v[175:176], v[16:17], v[175:176]
	v_add_f64_e32 v[109:110], v[16:17], v[109:110]
	;; [unrolled: 1-line block ×6, first 2 shown]
	v_mul_f64_e32 v[36:37], s[16:17], v[87:88]
	v_mul_f64_e32 v[38:39], s[2:3], v[87:88]
	;; [unrolled: 1-line block ×3, first 2 shown]
	v_fma_f64 v[163:164], v[70:71], s[18:19], v[77:78]
	v_fma_f64 v[77:78], v[70:71], s[22:23], v[77:78]
	v_fma_f64 v[165:166], v[70:71], s[24:25], v[79:80]
	v_fma_f64 v[79:80], v[70:71], s[28:29], v[79:80]
	v_fma_f64 v[173:174], v[70:71], s[38:39], v[73:74]
	v_fma_f64 v[70:71], v[70:71], s[20:21], v[73:74]
	v_fma_f64 v[73:74], v[81:82], s[2:3], v[107:108]
	v_fma_f64 v[107:108], v[81:82], s[2:3], -v[107:108]
	v_fma_f64 v[81:82], v[99:100], s[20:21], v[117:118]
	v_fma_f64 v[117:118], v[99:100], s[38:39], v[117:118]
	;; [unrolled: 1-line block ×3, first 2 shown]
	v_fma_f64 v[149:150], v[44:45], s[16:17], -v[149:150]
	v_fma_f64 v[213:214], v[44:45], s[14:15], v[151:152]
	v_fma_f64 v[151:152], v[44:45], s[14:15], -v[151:152]
	v_fma_f64 v[215:216], v[44:45], s[6:7], v[46:47]
	v_add_f64_e32 v[101:102], v[18:19], v[101:102]
	v_add_f64_e32 v[111:112], v[16:17], v[111:112]
	;; [unrolled: 1-line block ×11, first 2 shown]
	v_mul_f64_e32 v[219:220], s[18:19], v[93:94]
	v_mul_f64_e32 v[221:222], s[12:13], v[93:94]
	;; [unrolled: 1-line block ×4, first 2 shown]
	v_add_f64_e32 v[109:110], v[129:130], v[109:110]
	v_mul_f64_e32 v[129:130], s[2:3], v[68:69]
	v_mad_u32_u24 v53, 0xc0, v52, v72
	v_add_f64_e32 v[30:31], v[34:35], v[30:31]
	v_add_f64_e32 v[28:29], v[32:33], v[28:29]
	v_fma_f64 v[32:33], v[99:100], s[18:19], v[123:124]
	v_fma_f64 v[34:35], v[99:100], s[22:23], v[123:124]
	;; [unrolled: 1-line block ×5, first 2 shown]
	v_fma_f64 v[127:128], v[40:41], s[14:15], -v[127:128]
	v_fma_f64 v[40:41], v[40:41], s[16:17], -v[85:86]
	v_fma_f64 v[85:86], v[97:98], s[24:25], v[137:138]
	v_fma_f64 v[137:138], v[97:98], s[28:29], v[137:138]
	v_fma_f64 v[97:98], v[44:45], s[10:11], v[147:148]
	v_fma_f64 v[147:148], v[44:45], s[10:11], -v[147:148]
	v_add_f64_e32 v[163:164], v[18:19], v[163:164]
	v_add_f64_e32 v[73:74], v[16:17], v[73:74]
	;; [unrolled: 1-line block ×9, first 2 shown]
	v_fma_f64 v[70:71], v[89:90], s[22:23], v[38:39]
	v_fma_f64 v[38:39], v[89:90], s[18:19], v[38:39]
	;; [unrolled: 1-line block ×6, first 2 shown]
	v_add_f64_e32 v[101:102], v[121:122], v[101:102]
	v_add_f64_e32 v[113:114], v[133:134], v[113:114]
	;; [unrolled: 1-line block ×3, first 2 shown]
	v_fma_f64 v[229:230], v[91:92], s[2:3], v[219:220]
	v_fma_f64 v[219:220], v[91:92], s[2:3], -v[219:220]
	v_fma_f64 v[231:232], v[91:92], s[6:7], v[221:222]
	v_fma_f64 v[221:222], v[91:92], s[6:7], -v[221:222]
	v_fma_f64 v[233:234], v[91:92], s[14:15], v[223:224]
	v_fma_f64 v[223:224], v[91:92], s[14:15], -v[223:224]
	v_fma_f64 v[235:236], v[91:92], s[10:11], v[225:226]
	v_add_f64_e32 v[26:27], v[30:31], v[26:27]
	v_add_f64_e32 v[24:25], v[28:29], v[24:25]
	v_fma_f64 v[28:29], v[44:45], s[0:1], v[153:154]
	v_fma_f64 v[30:31], v[44:45], s[0:1], -v[153:154]
	v_fma_f64 v[153:154], v[44:45], s[2:3], v[155:156]
	v_fma_f64 v[155:156], v[44:45], s[2:3], -v[155:156]
	v_fma_f64 v[44:45], v[44:45], s[6:7], -v[46:47]
	v_fma_f64 v[46:47], v[89:90], s[26:27], v[36:37]
	v_fma_f64 v[36:37], v[89:90], s[40:41], v[36:37]
	v_fma_f64 v[225:226], v[91:92], s[10:11], -v[225:226]
	v_add_f64_e32 v[32:33], v[32:33], v[169:170]
	v_add_f64_e32 v[34:35], v[34:35], v[103:104]
	;; [unrolled: 1-line block ×17, first 2 shown]
	v_mul_f64_e32 v[163:164], s[16:17], v[68:69]
	v_mul_f64_e32 v[103:104], s[6:7], v[68:69]
	;; [unrolled: 1-line block ×6, first 2 shown]
	v_add_f64_e32 v[101:102], v[141:142], v[101:102]
	v_add_f64_e32 v[109:110], v[149:150], v[109:110]
	v_mul_f64_e32 v[169:170], s[18:19], v[42:43]
	v_mul_f64_e32 v[121:122], s[0:1], v[68:69]
	;; [unrolled: 1-line block ×3, first 2 shown]
	v_add_f64_e32 v[22:23], v[26:27], v[22:23]
	v_add_f64_e32 v[20:21], v[24:25], v[20:21]
	v_fma_f64 v[24:25], v[89:90], s[20:21], v[159:160]
	v_fma_f64 v[26:27], v[89:90], s[38:39], v[159:160]
	;; [unrolled: 1-line block ×4, first 2 shown]
	v_mul_f64_e32 v[89:90], s[40:41], v[93:94]
	v_mul_f64_e32 v[93:94], s[34:35], v[93:94]
	v_add_f64_e32 v[30:31], v[30:31], v[113:114]
	v_add_f64_e32 v[115:116], v[155:156], v[115:116]
	v_mul_f64_e32 v[83:84], s[0:1], v[64:65]
	v_mul_f64_e32 v[40:41], s[34:35], v[62:63]
	v_add_f64_e32 v[105:106], v[145:146], v[105:106]
	v_add_f64_e32 v[81:82], v[85:86], v[81:82]
	;; [unrolled: 1-line block ×7, first 2 shown]
	v_mul_f64_e32 v[137:138], s[14:15], v[64:65]
	v_add_f64_e32 v[28:29], v[28:29], v[131:132]
	v_add_f64_e32 v[123:124], v[207:208], v[123:124]
	v_add_f64_e32 v[141:142], v[153:154], v[167:168]
	v_add_f64_e32 v[119:120], v[213:214], v[119:120]
	v_mul_f64_e32 v[85:86], s[16:17], v[64:65]
	v_add_f64_e32 v[18:19], v[95:96], v[18:19]
	v_add_f64_e32 v[16:17], v[44:45], v[16:17]
	v_fma_f64 v[113:114], v[66:67], s[26:27], v[163:164]
	v_fma_f64 v[95:96], v[66:67], s[36:37], v[103:104]
	v_fma_f64 v[131:132], v[48:49], s[0:1], v[133:134]
	v_fma_f64 v[133:134], v[48:49], s[0:1], -v[133:134]
	v_fma_f64 v[139:140], v[48:49], s[14:15], v[165:166]
	v_mul_f64_e32 v[97:98], s[10:11], v[64:65]
	v_fma_f64 v[145:146], v[48:49], s[14:15], -v[165:166]
	v_fma_f64 v[153:154], v[48:49], s[16:17], v[125:126]
	v_mul_f64_e32 v[173:174], s[6:7], v[64:65]
	v_mul_f64_e32 v[177:178], s[36:37], v[62:63]
	v_fma_f64 v[179:180], v[66:67], s[30:31], v[121:122]
	v_add_f64_e32 v[14:15], v[22:23], v[14:15]
	v_add_f64_e32 v[22:23], v[205:206], v[32:33]
	;; [unrolled: 1-line block ×6, first 2 shown]
	v_fma_f64 v[227:228], v[91:92], s[16:17], v[89:90]
	v_fma_f64 v[89:90], v[91:92], s[16:17], -v[89:90]
	v_fma_f64 v[237:238], v[91:92], s[0:1], v[93:94]
	v_fma_f64 v[91:92], v[91:92], s[0:1], -v[93:94]
	v_add_f64_e32 v[93:94], v[127:128], v[107:108]
	v_add_f64_e32 v[107:108], v[191:192], v[175:176]
	;; [unrolled: 1-line block ×3, first 2 shown]
	v_mul_f64_e32 v[127:128], s[14:15], v[68:69]
	v_mul_f64_e32 v[68:69], s[10:11], v[68:69]
	v_fma_f64 v[111:112], v[66:67], s[22:23], v[129:130]
	v_add_f64_e32 v[46:47], v[46:47], v[81:82]
	v_add_f64_e32 v[36:37], v[36:37], v[77:78]
	;; [unrolled: 1-line block ×11, first 2 shown]
	v_fma_f64 v[151:152], v[48:49], s[2:3], -v[169:170]
	v_fma_f64 v[121:122], v[66:67], s[34:35], v[121:122]
	v_fma_f64 v[149:150], v[48:49], s[2:3], v[169:170]
	v_mul_f64_e32 v[64:65], s[2:3], v[64:65]
	v_add_f64_e32 v[18:19], v[87:88], v[18:19]
	v_add_f64_e32 v[10:11], v[14:15], v[10:11]
	v_add_f64_e32 v[14:15], v[24:25], v[22:23]
	v_add_f64_e32 v[22:23], v[26:27], v[32:33]
	v_mul_f64_e32 v[24:25], s[38:39], v[62:63]
	v_fma_f64 v[32:33], v[48:49], s[16:17], -v[125:126]
	v_add_f64_e32 v[8:9], v[12:13], v[8:9]
	v_add_f64_e32 v[73:74], v[227:228], v[73:74]
	;; [unrolled: 1-line block ×4, first 2 shown]
	v_mul_f64_e32 v[26:27], s[28:29], v[62:63]
	v_add_f64_e32 v[93:94], v[147:148], v[93:94]
	v_add_f64_e32 v[107:108], v[211:212], v[107:108]
	;; [unrolled: 1-line block ×3, first 2 shown]
	v_fma_f64 v[181:182], v[66:67], s[20:21], v[127:128]
	v_fma_f64 v[34:35], v[66:67], s[38:39], v[127:128]
	;; [unrolled: 1-line block ×6, first 2 shown]
	v_mul_f64_e32 v[147:148], s[40:41], v[62:63]
	v_add_f64_e32 v[117:118], v[217:218], v[143:144]
	v_mul_f64_e32 v[62:63], s[22:23], v[62:63]
	v_add_f64_e32 v[16:17], v[91:92], v[16:17]
	v_add_f64_e32 v[46:47], v[179:180], v[46:47]
	;; [unrolled: 1-line block ×4, first 2 shown]
	v_fma_f64 v[123:124], v[60:61], s[18:19], v[64:65]
	v_add_f64_e32 v[87:88], v[10:11], v[6:7]
	v_fma_f64 v[10:11], v[60:61], s[36:37], v[173:174]
	v_add_f64_e32 v[113:114], v[113:114], v[22:23]
	v_fma_f64 v[22:23], v[60:61], s[34:35], v[83:84]
	v_fma_f64 v[125:126], v[50:51], s[14:15], v[24:25]
	v_add_f64_e32 v[91:92], v[151:152], v[12:13]
	v_add_f64_e32 v[111:112], v[153:154], v[20:21]
	v_fma_f64 v[20:21], v[50:51], s[0:1], v[40:41]
	v_add_f64_e32 v[77:78], v[89:90], v[93:94]
	v_add_f64_e32 v[81:82], v[229:230], v[107:108]
	;; [unrolled: 1-line block ×3, first 2 shown]
	v_fma_f64 v[107:108], v[48:49], s[6:7], -v[135:136]
	v_add_f64_e32 v[89:90], v[231:232], v[119:120]
	v_fma_f64 v[101:102], v[66:67], s[24:25], v[68:69]
	v_fma_f64 v[66:67], v[66:67], s[28:29], v[68:69]
	v_fma_f64 v[68:69], v[48:49], s[10:11], -v[42:43]
	v_fma_f64 v[42:43], v[48:49], s[10:11], v[42:43]
	v_add_f64_e32 v[44:45], v[237:238], v[44:45]
	v_add_f64_e32 v[48:49], v[131:132], v[73:74]
	v_add_f64_e32 v[34:35], v[34:35], v[38:39]
	v_add_f64_e32 v[119:120], v[32:33], v[30:31]
	v_add_f64_e32 v[32:33], v[95:96], v[105:106]
	v_fma_f64 v[105:106], v[60:61], s[38:39], v[137:138]
	v_add_f64_e32 v[38:39], v[145:146], v[79:80]
	v_add_f64_e32 v[99:100], v[28:29], v[99:100]
	v_fma_f64 v[28:29], v[50:51], s[0:1], -v[40:41]
	v_add_f64_e32 v[40:41], v[103:104], v[109:110]
	v_fma_f64 v[30:31], v[60:61], s[26:27], v[85:86]
	v_fma_f64 v[103:104], v[60:61], s[24:25], v[97:98]
	;; [unrolled: 1-line block ×3, first 2 shown]
	v_fma_f64 v[109:110], v[50:51], s[10:11], -v[26:27]
	v_fma_f64 v[85:86], v[60:61], s[40:41], v[85:86]
	v_fma_f64 v[12:13], v[50:51], s[6:7], -v[177:178]
	v_add_f64_e32 v[70:71], v[181:182], v[70:71]
	v_fma_f64 v[121:122], v[50:51], s[10:11], v[26:27]
	v_add_f64_e32 v[2:3], v[87:88], v[2:3]
	v_add_f64_e32 v[10:11], v[10:11], v[36:37]
	;; [unrolled: 1-line block ×6, first 2 shown]
	v_fma_f64 v[14:15], v[60:61], s[30:31], v[83:84]
	v_add_f64_e32 v[83:84], v[107:108], v[115:116]
	v_fma_f64 v[107:108], v[50:51], s[14:15], -v[24:25]
	v_fma_f64 v[115:116], v[50:51], s[16:17], -v[147:148]
	v_add_f64_e32 v[79:80], v[149:150], v[89:90]
	v_add_f64_e32 v[89:90], v[8:9], v[4:5]
	v_fma_f64 v[4:5], v[60:61], s[12:13], v[173:174]
	v_fma_f64 v[8:9], v[50:51], s[6:7], v[177:178]
	v_add_f64_e32 v[95:96], v[101:102], v[117:118]
	v_fma_f64 v[101:102], v[50:51], s[16:17], v[147:148]
	v_fma_f64 v[117:118], v[60:61], s[20:21], v[137:138]
	;; [unrolled: 1-line block ×3, first 2 shown]
	v_add_f64_e32 v[64:65], v[66:67], v[18:19]
	v_add_f64_e32 v[66:67], v[68:69], v[16:17]
	v_fma_f64 v[68:69], v[50:51], s[2:3], -v[62:63]
	v_fma_f64 v[62:63], v[50:51], s[2:3], v[62:63]
	v_add_f64_e32 v[44:45], v[42:43], v[44:45]
	v_add_f64_e32 v[18:19], v[22:23], v[34:35]
	;; [unrolled: 1-line block ×25, first 2 shown]
	ds_store_b128 v53, v[32:35] offset:32
	ds_store_b128 v53, v[28:31] offset:48
	;; [unrolled: 1-line block ×11, first 2 shown]
	ds_store_b128 v53, v[0:3]
	ds_store_b128 v53, v[44:47] offset:192
.LBB0_19:
	s_or_b32 exec_lo, exec_lo, s33
	v_add_nc_u32_e32 v4, 0xd0, v52
	v_add_nc_u32_e32 v0, 0x1a0, v52
	v_and_b32_e32 v2, 0xff, v52
	v_add_nc_u32_e32 v1, 0x270, v52
	global_wb scope:SCOPE_SE
	s_wait_dscnt 0x0
	v_and_b32_e32 v3, 0xffff, v4
	v_and_b32_e32 v7, 0xffff, v0
	v_mul_lo_u16 v6, 0x4f, v2
	v_and_b32_e32 v2, 0xffff, v1
	s_barrier_signal -1
	v_mul_u32_u24_e32 v5, 0x4ec5, v3
	v_mul_u32_u24_e32 v3, 0x4ec5, v7
	v_lshrrev_b16 v47, 10, v6
	v_mul_u32_u24_e32 v2, 0x4ec5, v2
	s_barrier_wait -1
	v_lshrrev_b32_e32 v48, 18, v5
	v_lshrrev_b32_e32 v49, 18, v3
	v_mul_lo_u16 v7, v47, 13
	v_lshrrev_b32_e32 v50, 18, v2
	global_inv scope:SCOPE_SE
	v_mul_lo_u16 v8, v48, 13
	v_mul_lo_u16 v9, v49, 13
	v_sub_nc_u16 v7, v52, v7
	v_mul_lo_u16 v10, v50, 13
	v_lshrrev_b16 v62, 11, v6
	v_sub_nc_u16 v8, v4, v8
	v_sub_nc_u16 v9, v0, v9
	v_and_b32_e32 v7, 0xff, v7
	v_sub_nc_u16 v10, v1, v10
	v_lshrrev_b32_e32 v63, 19, v3
	v_and_b32_e32 v8, 0xffff, v8
	v_and_b32_e32 v9, 0xffff, v9
	v_lshlrev_b32_e32 v51, 4, v7
	v_and_b32_e32 v11, 0xffff, v10
	v_lshrrev_b32_e32 v64, 19, v2
	v_lshlrev_b32_e32 v53, 4, v8
	v_lshlrev_b32_e32 v60, 4, v9
	global_load_b128 v[7:10], v51, s[4:5]
	v_lshlrev_b32_e32 v61, 4, v11
	v_lshrrev_b32_e32 v73, 20, v5
	s_clause 0x2
	global_load_b128 v[11:14], v53, s[4:5]
	global_load_b128 v[15:18], v60, s[4:5]
	;; [unrolled: 1-line block ×3, first 2 shown]
	ds_load_b128 v[23:26], v72 offset:13312
	ds_load_b128 v[27:30], v72 offset:16640
	;; [unrolled: 1-line block ×4, first 2 shown]
	v_lshrrev_b32_e32 v3, 22, v3
	v_lshrrev_b32_e32 v2, 22, v2
	s_delay_alu instid0(VALU_DEP_2) | instskip(NEXT) | instid1(VALU_DEP_2)
	v_mul_lo_u16 v3, 0xd0, v3
	v_mul_lo_u16 v2, 0xd0, v2
	s_wait_loadcnt_dscnt 0x303
	v_mul_f64_e32 v[39:40], v[25:26], v[9:10]
	v_mul_f64_e32 v[9:10], v[23:24], v[9:10]
	s_wait_loadcnt_dscnt 0x202
	v_mul_f64_e32 v[41:42], v[29:30], v[13:14]
	v_mul_f64_e32 v[13:14], v[27:28], v[13:14]
	;; [unrolled: 3-line block ×4, first 2 shown]
	v_fma_f64 v[23:24], v[23:24], v[7:8], -v[39:40]
	v_fma_f64 v[25:26], v[25:26], v[7:8], v[9:10]
	v_fma_f64 v[27:28], v[27:28], v[11:12], -v[41:42]
	v_fma_f64 v[29:30], v[29:30], v[11:12], v[13:14]
	;; [unrolled: 2-line block ×4, first 2 shown]
	ds_load_b128 v[7:10], v72
	ds_load_b128 v[11:14], v72 offset:3328
	ds_load_b128 v[15:18], v72 offset:6656
	;; [unrolled: 1-line block ×3, first 2 shown]
	v_and_b32_e32 v39, 0xffff, v47
	v_lshrrev_b32_e32 v47, 19, v5
	v_mul_lo_u16 v40, v62, 26
	v_mul_lo_u16 v43, v63, 26
	;; [unrolled: 1-line block ×3, first 2 shown]
	v_mul_u32_u24_e32 v39, 0x1a0, v39
	v_mul_lo_u16 v42, v47, 26
	v_sub_nc_u16 v40, v52, v40
	v_sub_nc_u16 v43, v0, v43
	;; [unrolled: 1-line block ×3, first 2 shown]
	v_mul_u32_u24_e32 v41, 0x1a0, v48
	v_sub_nc_u16 v42, v4, v42
	v_and_b32_e32 v40, 0xff, v40
	v_mul_u32_u24_e32 v45, 0x1a0, v49
	v_mul_u32_u24_e32 v46, 0x1a0, v50
	v_and_b32_e32 v43, 0xffff, v43
	v_and_b32_e32 v42, 0xffff, v42
	v_lshlrev_b32_e32 v48, 4, v40
	v_add3_u32 v39, 0, v39, v51
	v_and_b32_e32 v40, 0xffff, v44
	v_add3_u32 v41, 0, v41, v53
	v_lshlrev_b32_e32 v49, 4, v42
	v_add3_u32 v42, 0, v45, v60
	v_lshlrev_b32_e32 v50, 4, v43
	global_wb scope:SCOPE_SE
	s_wait_dscnt 0x0
	s_barrier_signal -1
	s_barrier_wait -1
	global_inv scope:SCOPE_SE
	v_add3_u32 v43, 0, v46, v61
	v_add_f64_e64 v[23:24], v[7:8], -v[23:24]
	v_add_f64_e64 v[25:26], v[9:10], -v[25:26]
	v_add_f64_e64 v[27:28], v[11:12], -v[27:28]
	v_add_f64_e64 v[29:30], v[13:14], -v[29:30]
	v_add_f64_e64 v[31:32], v[15:16], -v[31:32]
	v_add_f64_e64 v[33:34], v[17:18], -v[33:34]
	v_add_f64_e64 v[35:36], v[19:20], -v[35:36]
	v_add_f64_e64 v[37:38], v[21:22], -v[37:38]
	v_lshlrev_b32_e32 v51, 4, v40
	v_lshrrev_b16 v53, 12, v6
	v_sub_nc_u16 v0, v0, v3
	v_sub_nc_u16 v1, v1, v2
	s_delay_alu instid0(VALU_DEP_2)
	v_and_b32_e32 v0, 0xffff, v0
	v_fma_f64 v[7:8], v[7:8], 2.0, -v[23:24]
	v_fma_f64 v[9:10], v[9:10], 2.0, -v[25:26]
	;; [unrolled: 1-line block ×8, first 2 shown]
	ds_store_b128 v39, v[7:10]
	ds_store_b128 v39, v[23:26] offset:208
	ds_store_b128 v41, v[11:14]
	ds_store_b128 v41, v[27:30] offset:208
	;; [unrolled: 2-line block ×4, first 2 shown]
	global_wb scope:SCOPE_SE
	s_wait_dscnt 0x0
	s_barrier_signal -1
	s_barrier_wait -1
	global_inv scope:SCOPE_SE
	s_clause 0x3
	global_load_b128 v[7:10], v48, s[4:5] offset:208
	global_load_b128 v[11:14], v49, s[4:5] offset:208
	;; [unrolled: 1-line block ×4, first 2 shown]
	ds_load_b128 v[23:26], v72 offset:13312
	ds_load_b128 v[27:30], v72 offset:16640
	;; [unrolled: 1-line block ×4, first 2 shown]
	s_wait_loadcnt_dscnt 0x202
	v_mul_f64_e32 v[41:42], v[29:30], v[13:14]
	v_mul_f64_e32 v[39:40], v[25:26], v[9:10]
	;; [unrolled: 1-line block ×4, first 2 shown]
	s_wait_loadcnt_dscnt 0x101
	v_mul_f64_e32 v[43:44], v[33:34], v[17:18]
	v_mul_f64_e32 v[17:18], v[31:32], v[17:18]
	s_wait_loadcnt_dscnt 0x0
	v_mul_f64_e32 v[45:46], v[37:38], v[21:22]
	v_mul_f64_e32 v[21:22], v[35:36], v[21:22]
	v_fma_f64 v[27:28], v[27:28], v[11:12], -v[41:42]
	v_fma_f64 v[23:24], v[23:24], v[7:8], -v[39:40]
	v_fma_f64 v[25:26], v[25:26], v[7:8], v[9:10]
	v_fma_f64 v[29:30], v[29:30], v[11:12], v[13:14]
	v_fma_f64 v[31:32], v[31:32], v[15:16], -v[43:44]
	v_fma_f64 v[33:34], v[33:34], v[15:16], v[17:18]
	v_fma_f64 v[35:36], v[35:36], v[19:20], -v[45:46]
	v_fma_f64 v[37:38], v[37:38], v[19:20], v[21:22]
	ds_load_b128 v[7:10], v72
	ds_load_b128 v[11:14], v72 offset:3328
	ds_load_b128 v[15:18], v72 offset:6656
	;; [unrolled: 1-line block ×3, first 2 shown]
	v_and_b32_e32 v39, 0xffff, v62
	v_mul_u32_u24_e32 v40, 0x340, v64
	global_wb scope:SCOPE_SE
	s_wait_dscnt 0x0
	s_barrier_signal -1
	s_barrier_wait -1
	global_inv scope:SCOPE_SE
	v_add3_u32 v40, 0, v40, v51
	v_add_f64_e64 v[27:28], v[11:12], -v[27:28]
	v_add_f64_e64 v[23:24], v[7:8], -v[23:24]
	;; [unrolled: 1-line block ×8, first 2 shown]
	v_fma_f64 v[6:7], v[7:8], 2.0, -v[23:24]
	v_fma_f64 v[8:9], v[9:10], 2.0, -v[25:26]
	;; [unrolled: 1-line block ×8, first 2 shown]
	v_mul_lo_u16 v22, v53, 52
	s_delay_alu instid0(VALU_DEP_1) | instskip(SKIP_1) | instid1(VALU_DEP_2)
	v_sub_nc_u16 v5, v52, v22
	v_mul_lo_u16 v22, v73, 52
	v_and_b32_e32 v74, 0xff, v5
	s_delay_alu instid0(VALU_DEP_2) | instskip(SKIP_2) | instid1(VALU_DEP_4)
	v_sub_nc_u16 v4, v4, v22
	v_mul_u32_u24_e32 v5, 0x340, v39
	v_mul_u32_u24_e32 v22, 0x340, v47
	;; [unrolled: 1-line block ×3, first 2 shown]
	s_delay_alu instid0(VALU_DEP_4)
	v_and_b32_e32 v75, 0xffff, v4
	v_mul_u32_u24_e32 v4, 0x340, v63
	v_add3_u32 v5, 0, v5, v48
	v_add3_u32 v22, 0, v22, v49
	v_lshlrev_b32_e32 v39, 4, v39
	v_mul_u32_u24_e32 v41, 3, v75
	v_add3_u32 v4, 0, v4, v50
	ds_store_b128 v5, v[6:9]
	ds_store_b128 v5, v[23:26] offset:416
	ds_store_b128 v22, v[10:13]
	ds_store_b128 v22, v[27:30] offset:416
	;; [unrolled: 2-line block ×4, first 2 shown]
	v_lshlrev_b32_e32 v24, 4, v41
	global_wb scope:SCOPE_SE
	s_wait_dscnt 0x0
	s_barrier_signal -1
	s_barrier_wait -1
	global_inv scope:SCOPE_SE
	s_clause 0x5
	global_load_b128 v[4:7], v39, s[4:5] offset:624
	global_load_b128 v[8:11], v39, s[4:5] offset:640
	;; [unrolled: 1-line block ×6, first 2 shown]
	ds_load_b128 v[28:31], v72 offset:6656
	ds_load_b128 v[32:35], v72 offset:13312
	;; [unrolled: 1-line block ×6, first 2 shown]
	v_lshlrev_b32_e32 v2, 4, v74
	s_wait_loadcnt_dscnt 0x404
	v_mul_f64_e32 v[62:63], v[34:35], v[10:11]
	v_mul_f64_e32 v[10:11], v[32:33], v[10:11]
	s_wait_loadcnt_dscnt 0x303
	v_mul_f64_e32 v[64:65], v[38:39], v[14:15]
	v_mul_f64_e32 v[60:61], v[30:31], v[6:7]
	v_mul_f64_e32 v[6:7], v[28:29], v[6:7]
	v_mul_f64_e32 v[14:15], v[36:37], v[14:15]
	s_wait_loadcnt_dscnt 0x202
	v_mul_f64_e32 v[66:67], v[42:43], v[18:19]
	v_mul_f64_e32 v[18:19], v[40:41], v[18:19]
	s_wait_loadcnt_dscnt 0x101
	v_mul_f64_e32 v[68:69], v[46:47], v[22:23]
	v_mul_f64_e32 v[22:23], v[44:45], v[22:23]
	;; [unrolled: 3-line block ×3, first 2 shown]
	v_fma_f64 v[32:33], v[32:33], v[8:9], -v[62:63]
	v_fma_f64 v[34:35], v[34:35], v[8:9], v[10:11]
	v_fma_f64 v[36:37], v[36:37], v[12:13], -v[64:65]
	v_fma_f64 v[28:29], v[28:29], v[4:5], -v[60:61]
	v_fma_f64 v[30:31], v[30:31], v[4:5], v[6:7]
	v_fma_f64 v[12:13], v[38:39], v[12:13], v[14:15]
	v_fma_f64 v[14:15], v[40:41], v[16:17], -v[66:67]
	v_fma_f64 v[16:17], v[42:43], v[16:17], v[18:19]
	v_fma_f64 v[18:19], v[44:45], v[20:21], -v[68:69]
	;; [unrolled: 2-line block ×3, first 2 shown]
	v_fma_f64 v[24:25], v[50:51], v[24:25], v[26:27]
	ds_load_b128 v[4:7], v72
	ds_load_b128 v[8:11], v72 offset:3328
	global_wb scope:SCOPE_SE
	s_wait_dscnt 0x0
	s_barrier_signal -1
	s_barrier_wait -1
	global_inv scope:SCOPE_SE
	v_add_f64_e64 v[26:27], v[4:5], -v[32:33]
	v_add_f64_e64 v[32:33], v[6:7], -v[34:35]
	;; [unrolled: 1-line block ×8, first 2 shown]
	v_fma_f64 v[40:41], v[4:5], 2.0, -v[26:27]
	v_fma_f64 v[42:43], v[6:7], 2.0, -v[32:33]
	;; [unrolled: 1-line block ×3, first 2 shown]
	v_add_f64_e32 v[6:7], v[32:33], v[34:35]
	v_fma_f64 v[24:25], v[30:31], 2.0, -v[12:13]
	v_add_f64_e64 v[4:5], v[26:27], -v[12:13]
	v_fma_f64 v[44:45], v[8:9], 2.0, -v[36:37]
	v_fma_f64 v[46:47], v[10:11], 2.0, -v[38:39]
	;; [unrolled: 1-line block ×4, first 2 shown]
	v_add_f64_e64 v[8:9], v[36:37], -v[18:19]
	v_add_f64_e64 v[12:13], v[40:41], -v[22:23]
	v_fma_f64 v[22:23], v[32:33], 2.0, -v[6:7]
	v_add_f64_e64 v[14:15], v[42:43], -v[24:25]
	v_add_f64_e64 v[16:17], v[44:45], -v[10:11]
	;; [unrolled: 1-line block ×3, first 2 shown]
	v_add_f64_e32 v[10:11], v[38:39], v[20:21]
	v_fma_f64 v[20:21], v[26:27], 2.0, -v[4:5]
	v_fma_f64 v[24:25], v[36:37], 2.0, -v[8:9]
	v_and_b32_e32 v36, 0xffff, v53
	s_delay_alu instid0(VALU_DEP_1)
	v_mul_u32_u24_e32 v3, 0xd00, v36
	v_add_co_u32 v36, s0, s4, v58
	s_wait_alu 0xf1ff
	v_add_co_ci_u32_e64 v37, s0, s5, v59, s0
	v_fma_f64 v[28:29], v[40:41], 2.0, -v[12:13]
	v_and_b32_e32 v40, 0xffff, v1
	v_fma_f64 v[30:31], v[42:43], 2.0, -v[14:15]
	v_add3_u32 v1, 0, v3, v2
	v_fma_f64 v[32:33], v[44:45], 2.0, -v[16:17]
	v_fma_f64 v[34:35], v[46:47], 2.0, -v[18:19]
	;; [unrolled: 1-line block ×3, first 2 shown]
	v_mul_u32_u24_e32 v38, 0xd00, v73
	v_lshlrev_b32_e32 v39, 4, v75
	v_lshlrev_b32_e32 v46, 4, v0
	;; [unrolled: 1-line block ×3, first 2 shown]
	s_delay_alu instid0(VALU_DEP_3)
	v_add3_u32 v0, 0, v38, v39
	ds_store_b128 v1, v[12:15] offset:1664
	ds_store_b128 v1, v[4:7] offset:2496
	ds_store_b128 v1, v[28:31]
	ds_store_b128 v1, v[20:23] offset:832
	ds_store_b128 v0, v[32:35]
	ds_store_b128 v0, v[24:27] offset:832
	ds_store_b128 v0, v[16:19] offset:1664
	;; [unrolled: 1-line block ×3, first 2 shown]
	global_wb scope:SCOPE_SE
	s_wait_dscnt 0x0
	s_barrier_signal -1
	s_barrier_wait -1
	global_inv scope:SCOPE_SE
	s_clause 0x2
	global_load_b128 v[0:3], v[36:37], off offset:3120
	global_load_b128 v[4:7], v46, s[4:5] offset:3120
	global_load_b128 v[8:11], v47, s[4:5] offset:3120
	ds_load_b128 v[12:15], v72 offset:13312
	ds_load_b128 v[16:19], v72 offset:16640
	;; [unrolled: 1-line block ×4, first 2 shown]
	s_wait_loadcnt_dscnt 0x101
	v_mul_f64_e32 v[34:35], v[22:23], v[6:7]
	v_mul_f64_e32 v[28:29], v[14:15], v[2:3]
	;; [unrolled: 1-line block ×6, first 2 shown]
	s_wait_loadcnt_dscnt 0x0
	v_mul_f64_e32 v[38:39], v[26:27], v[10:11]
	v_mul_f64_e32 v[10:11], v[24:25], v[10:11]
	v_fma_f64 v[34:35], v[20:21], v[4:5], -v[34:35]
	v_fma_f64 v[28:29], v[12:13], v[0:1], -v[28:29]
	v_fma_f64 v[30:31], v[14:15], v[0:1], v[30:31]
	v_fma_f64 v[32:33], v[16:17], v[0:1], -v[32:33]
	v_fma_f64 v[40:41], v[18:19], v[0:1], v[2:3]
	v_fma_f64 v[42:43], v[22:23], v[4:5], v[6:7]
	v_fma_f64 v[38:39], v[24:25], v[8:9], -v[38:39]
	v_fma_f64 v[44:45], v[26:27], v[8:9], v[10:11]
	ds_load_b128 v[0:3], v72
	ds_load_b128 v[4:7], v72 offset:3328
	ds_load_b128 v[8:11], v72 offset:6656
	;; [unrolled: 1-line block ×3, first 2 shown]
	global_wb scope:SCOPE_SE
	s_wait_dscnt 0x0
	s_barrier_signal -1
	s_barrier_wait -1
	global_inv scope:SCOPE_SE
	v_add_f64_e64 v[24:25], v[8:9], -v[34:35]
	v_add_f64_e64 v[16:17], v[0:1], -v[28:29]
	;; [unrolled: 1-line block ×8, first 2 shown]
	v_add_co_u32 v32, s0, s4, v56
	s_wait_alu 0xf1ff
	v_add_co_ci_u32_e64 v33, s0, s5, v57, s0
	v_add_nc_u32_e32 v34, 0, v46
	v_add_nc_u32_e32 v35, 0, v47
	v_fma_f64 v[8:9], v[8:9], 2.0, -v[24:25]
	v_fma_f64 v[0:1], v[0:1], 2.0, -v[16:17]
	;; [unrolled: 1-line block ×8, first 2 shown]
	ds_store_b128 v72, v[0:3]
	ds_store_b128 v72, v[16:19] offset:3328
	ds_store_b128 v72, v[4:7] offset:6656
	;; [unrolled: 1-line block ×7, first 2 shown]
	global_wb scope:SCOPE_SE
	s_wait_dscnt 0x0
	s_barrier_signal -1
	s_barrier_wait -1
	global_inv scope:SCOPE_SE
	s_clause 0x1
	global_load_b128 v[0:3], v[36:37], off offset:6448
	global_load_b128 v[4:7], v[32:33], off offset:9776
	ds_load_b128 v[8:11], v72 offset:13312
	ds_load_b128 v[12:15], v72 offset:16640
	;; [unrolled: 1-line block ×4, first 2 shown]
	s_wait_loadcnt_dscnt 0x103
	v_mul_f64_e32 v[24:25], v[10:11], v[2:3]
	v_mul_f64_e32 v[26:27], v[8:9], v[2:3]
	s_wait_loadcnt_dscnt 0x2
	v_mul_f64_e32 v[28:29], v[14:15], v[6:7]
	v_mul_f64_e32 v[30:31], v[12:13], v[6:7]
	s_wait_dscnt 0x1
	v_mul_f64_e32 v[34:35], v[18:19], v[2:3]
	v_mul_f64_e32 v[2:3], v[16:17], v[2:3]
	s_wait_dscnt 0x0
	v_mul_f64_e32 v[38:39], v[22:23], v[6:7]
	v_mul_f64_e32 v[6:7], v[20:21], v[6:7]
	v_fma_f64 v[24:25], v[8:9], v[0:1], -v[24:25]
	v_fma_f64 v[26:27], v[10:11], v[0:1], v[26:27]
	v_fma_f64 v[28:29], v[12:13], v[4:5], -v[28:29]
	v_fma_f64 v[30:31], v[14:15], v[4:5], v[30:31]
	;; [unrolled: 2-line block ×4, first 2 shown]
	ds_load_b128 v[0:3], v72
	ds_load_b128 v[4:7], v72 offset:3328
	ds_load_b128 v[8:11], v72 offset:6656
	;; [unrolled: 1-line block ×3, first 2 shown]
	global_wb scope:SCOPE_SE
	s_wait_dscnt 0x0
	s_barrier_signal -1
	s_barrier_wait -1
	global_inv scope:SCOPE_SE
	v_add_f64_e64 v[16:17], v[0:1], -v[24:25]
	v_add_f64_e64 v[18:19], v[2:3], -v[26:27]
	;; [unrolled: 1-line block ×8, first 2 shown]
	v_fma_f64 v[0:1], v[0:1], 2.0, -v[16:17]
	v_fma_f64 v[2:3], v[2:3], 2.0, -v[18:19]
	;; [unrolled: 1-line block ×8, first 2 shown]
	ds_store_b128 v72, v[16:19] offset:6656
	ds_store_b128 v72, v[20:23] offset:9984
	;; [unrolled: 1-line block ×4, first 2 shown]
	ds_store_b128 v72, v[0:3]
	ds_store_b128 v72, v[4:7] offset:3328
	ds_store_b128 v72, v[8:11] offset:13312
	;; [unrolled: 1-line block ×3, first 2 shown]
	global_wb scope:SCOPE_SE
	s_wait_dscnt 0x0
	s_barrier_signal -1
	s_barrier_wait -1
	global_inv scope:SCOPE_SE
	s_clause 0x3
	global_load_b128 v[0:3], v[36:37], off offset:13104
	global_load_b128 v[4:7], v[32:33], off offset:16432
	;; [unrolled: 1-line block ×4, first 2 shown]
	ds_load_b128 v[16:19], v72 offset:13312
	ds_load_b128 v[20:23], v72 offset:16640
	;; [unrolled: 1-line block ×4, first 2 shown]
	s_wait_loadcnt_dscnt 0x303
	v_mul_f64_e32 v[32:33], v[18:19], v[2:3]
	v_mul_f64_e32 v[2:3], v[16:17], v[2:3]
	s_wait_loadcnt_dscnt 0x202
	v_mul_f64_e32 v[34:35], v[22:23], v[6:7]
	v_mul_f64_e32 v[6:7], v[20:21], v[6:7]
	s_wait_loadcnt_dscnt 0x101
	v_mul_f64_e32 v[36:37], v[26:27], v[10:11]
	v_mul_f64_e32 v[10:11], v[24:25], v[10:11]
	s_wait_loadcnt_dscnt 0x0
	v_mul_f64_e32 v[38:39], v[30:31], v[14:15]
	v_mul_f64_e32 v[14:15], v[28:29], v[14:15]
	v_fma_f64 v[16:17], v[16:17], v[0:1], -v[32:33]
	v_fma_f64 v[18:19], v[18:19], v[0:1], v[2:3]
	v_fma_f64 v[20:21], v[20:21], v[4:5], -v[34:35]
	v_fma_f64 v[22:23], v[22:23], v[4:5], v[6:7]
	v_fma_f64 v[24:25], v[24:25], v[8:9], -v[36:37]
	v_fma_f64 v[26:27], v[26:27], v[8:9], v[10:11]
	v_fma_f64 v[28:29], v[28:29], v[12:13], -v[38:39]
	v_fma_f64 v[30:31], v[30:31], v[12:13], v[14:15]
	ds_load_b128 v[0:3], v72
	ds_load_b128 v[4:7], v72 offset:3328
	ds_load_b128 v[8:11], v72 offset:6656
	ds_load_b128 v[12:15], v72 offset:9984
	global_wb scope:SCOPE_SE
	s_wait_dscnt 0x0
	s_barrier_signal -1
	s_barrier_wait -1
	global_inv scope:SCOPE_SE
	v_add_f64_e64 v[16:17], v[0:1], -v[16:17]
	v_add_f64_e64 v[18:19], v[2:3], -v[18:19]
	;; [unrolled: 1-line block ×8, first 2 shown]
	v_fma_f64 v[0:1], v[0:1], 2.0, -v[16:17]
	v_fma_f64 v[2:3], v[2:3], 2.0, -v[18:19]
	;; [unrolled: 1-line block ×8, first 2 shown]
	ds_store_b128 v72, v[16:19] offset:13312
	ds_store_b128 v72, v[20:23] offset:16640
	;; [unrolled: 1-line block ×4, first 2 shown]
	ds_store_b128 v72, v[0:3]
	ds_store_b128 v72, v[4:7] offset:3328
	ds_store_b128 v72, v[8:11] offset:6656
	;; [unrolled: 1-line block ×3, first 2 shown]
	global_wb scope:SCOPE_SE
	s_wait_dscnt 0x0
	s_barrier_signal -1
	s_barrier_wait -1
	global_inv scope:SCOPE_SE
	s_and_saveexec_b32 s0, vcc_lo
	s_cbranch_execz .LBB0_21
; %bb.20:
	v_lshl_add_u32 v20, v52, 4, 0
	v_dual_mov_b32 v53, 0 :: v_dual_add_nc_u32 v8, 0xd0, v52
	v_add_co_u32 v36, vcc_lo, s8, v54
	ds_load_b128 v[0:3], v20
	ds_load_b128 v[4:7], v20 offset:3328
	v_dual_mov_b32 v9, v53 :: v_dual_add_nc_u32 v12, 0x1a0, v52
	v_lshlrev_b64_e32 v[10:11], 4, v[52:53]
	s_wait_alu 0xfffd
	v_add_co_ci_u32_e32 v37, vcc_lo, s9, v55, vcc_lo
	s_delay_alu instid0(VALU_DEP_3) | instskip(SKIP_1) | instid1(VALU_DEP_4)
	v_lshlrev_b64_e32 v[8:9], 4, v[8:9]
	v_dual_mov_b32 v13, v53 :: v_dual_add_nc_u32 v14, 0x270, v52
	v_add_co_u32 v10, vcc_lo, v36, v10
	s_wait_alu 0xfffd
	v_add_co_ci_u32_e32 v11, vcc_lo, v37, v11, vcc_lo
	s_delay_alu instid0(VALU_DEP_4)
	v_add_co_u32 v8, vcc_lo, v36, v8
	v_mov_b32_e32 v15, v53
	s_wait_alu 0xfffd
	v_add_co_ci_u32_e32 v9, vcc_lo, v37, v9, vcc_lo
	v_lshlrev_b64_e32 v[12:13], 4, v[12:13]
	v_dual_mov_b32 v17, v53 :: v_dual_add_nc_u32 v18, 0x4e0, v52
	s_wait_dscnt 0x1
	global_store_b128 v[10:11], v[0:3], off
	s_wait_dscnt 0x0
	global_store_b128 v[8:9], v[4:7], off
	v_add_nc_u32_e32 v10, 0x340, v52
	v_lshlrev_b64_e32 v[8:9], 4, v[14:15]
	v_add_co_u32 v24, vcc_lo, v36, v12
	v_dual_mov_b32 v11, v53 :: v_dual_add_nc_u32 v16, 0x410, v52
	s_wait_alu 0xfffd
	v_add_co_ci_u32_e32 v25, vcc_lo, v37, v13, vcc_lo
	s_delay_alu instid0(VALU_DEP_4)
	v_add_co_u32 v26, vcc_lo, v36, v8
	s_wait_alu 0xfffd
	v_add_co_ci_u32_e32 v27, vcc_lo, v37, v9, vcc_lo
	v_lshlrev_b64_e32 v[8:9], 4, v[10:11]
	v_dual_mov_b32 v19, v53 :: v_dual_add_nc_u32 v52, 0x5b0, v52
	ds_load_b128 v[0:3], v20 offset:6656
	ds_load_b128 v[4:7], v20 offset:9984
	v_lshlrev_b64_e32 v[30:31], 4, v[16:17]
	v_add_co_u32 v28, vcc_lo, v36, v8
	s_wait_alu 0xfffd
	v_add_co_ci_u32_e32 v29, vcc_lo, v37, v9, vcc_lo
	ds_load_b128 v[8:11], v20 offset:13312
	ds_load_b128 v[12:15], v20 offset:16640
	v_lshlrev_b64_e32 v[32:33], 4, v[18:19]
	ds_load_b128 v[16:19], v20 offset:19968
	ds_load_b128 v[20:23], v20 offset:23296
	v_add_co_u32 v30, vcc_lo, v36, v30
	v_lshlrev_b64_e32 v[34:35], 4, v[52:53]
	s_wait_alu 0xfffd
	v_add_co_ci_u32_e32 v31, vcc_lo, v37, v31, vcc_lo
	v_add_co_u32 v32, vcc_lo, v36, v32
	s_wait_alu 0xfffd
	v_add_co_ci_u32_e32 v33, vcc_lo, v37, v33, vcc_lo
	v_add_co_u32 v34, vcc_lo, v36, v34
	s_wait_alu 0xfffd
	v_add_co_ci_u32_e32 v35, vcc_lo, v37, v35, vcc_lo
	s_wait_dscnt 0x5
	global_store_b128 v[24:25], v[0:3], off
	s_wait_dscnt 0x4
	global_store_b128 v[26:27], v[4:7], off
	;; [unrolled: 2-line block ×6, first 2 shown]
.LBB0_21:
	s_nop 0
	s_sendmsg sendmsg(MSG_DEALLOC_VGPRS)
	s_endpgm
	.section	.rodata,"a",@progbits
	.p2align	6, 0x0
	.amdhsa_kernel fft_rtc_fwd_len1664_factors_13_2_2_4_2_2_2_wgs_208_tpt_208_halfLds_dp_ip_CI_unitstride_sbrr_C2R_dirReg
		.amdhsa_group_segment_fixed_size 0
		.amdhsa_private_segment_fixed_size 0
		.amdhsa_kernarg_size 88
		.amdhsa_user_sgpr_count 2
		.amdhsa_user_sgpr_dispatch_ptr 0
		.amdhsa_user_sgpr_queue_ptr 0
		.amdhsa_user_sgpr_kernarg_segment_ptr 1
		.amdhsa_user_sgpr_dispatch_id 0
		.amdhsa_user_sgpr_private_segment_size 0
		.amdhsa_wavefront_size32 1
		.amdhsa_uses_dynamic_stack 0
		.amdhsa_enable_private_segment 0
		.amdhsa_system_sgpr_workgroup_id_x 1
		.amdhsa_system_sgpr_workgroup_id_y 0
		.amdhsa_system_sgpr_workgroup_id_z 0
		.amdhsa_system_sgpr_workgroup_info 0
		.amdhsa_system_vgpr_workitem_id 0
		.amdhsa_next_free_vgpr 239
		.amdhsa_next_free_sgpr 42
		.amdhsa_reserve_vcc 1
		.amdhsa_float_round_mode_32 0
		.amdhsa_float_round_mode_16_64 0
		.amdhsa_float_denorm_mode_32 3
		.amdhsa_float_denorm_mode_16_64 3
		.amdhsa_fp16_overflow 0
		.amdhsa_workgroup_processor_mode 1
		.amdhsa_memory_ordered 1
		.amdhsa_forward_progress 0
		.amdhsa_round_robin_scheduling 0
		.amdhsa_exception_fp_ieee_invalid_op 0
		.amdhsa_exception_fp_denorm_src 0
		.amdhsa_exception_fp_ieee_div_zero 0
		.amdhsa_exception_fp_ieee_overflow 0
		.amdhsa_exception_fp_ieee_underflow 0
		.amdhsa_exception_fp_ieee_inexact 0
		.amdhsa_exception_int_div_zero 0
	.end_amdhsa_kernel
	.text
.Lfunc_end0:
	.size	fft_rtc_fwd_len1664_factors_13_2_2_4_2_2_2_wgs_208_tpt_208_halfLds_dp_ip_CI_unitstride_sbrr_C2R_dirReg, .Lfunc_end0-fft_rtc_fwd_len1664_factors_13_2_2_4_2_2_2_wgs_208_tpt_208_halfLds_dp_ip_CI_unitstride_sbrr_C2R_dirReg
                                        ; -- End function
	.section	.AMDGPU.csdata,"",@progbits
; Kernel info:
; codeLenInByte = 9760
; NumSgprs: 44
; NumVgprs: 239
; ScratchSize: 0
; MemoryBound: 0
; FloatMode: 240
; IeeeMode: 1
; LDSByteSize: 0 bytes/workgroup (compile time only)
; SGPRBlocks: 5
; VGPRBlocks: 29
; NumSGPRsForWavesPerEU: 44
; NumVGPRsForWavesPerEU: 239
; Occupancy: 6
; WaveLimiterHint : 1
; COMPUTE_PGM_RSRC2:SCRATCH_EN: 0
; COMPUTE_PGM_RSRC2:USER_SGPR: 2
; COMPUTE_PGM_RSRC2:TRAP_HANDLER: 0
; COMPUTE_PGM_RSRC2:TGID_X_EN: 1
; COMPUTE_PGM_RSRC2:TGID_Y_EN: 0
; COMPUTE_PGM_RSRC2:TGID_Z_EN: 0
; COMPUTE_PGM_RSRC2:TIDIG_COMP_CNT: 0
	.text
	.p2alignl 7, 3214868480
	.fill 96, 4, 3214868480
	.type	__hip_cuid_6b9927df0ac91721,@object ; @__hip_cuid_6b9927df0ac91721
	.section	.bss,"aw",@nobits
	.globl	__hip_cuid_6b9927df0ac91721
__hip_cuid_6b9927df0ac91721:
	.byte	0                               ; 0x0
	.size	__hip_cuid_6b9927df0ac91721, 1

	.ident	"AMD clang version 19.0.0git (https://github.com/RadeonOpenCompute/llvm-project roc-6.4.0 25133 c7fe45cf4b819c5991fe208aaa96edf142730f1d)"
	.section	".note.GNU-stack","",@progbits
	.addrsig
	.addrsig_sym __hip_cuid_6b9927df0ac91721
	.amdgpu_metadata
---
amdhsa.kernels:
  - .args:
      - .actual_access:  read_only
        .address_space:  global
        .offset:         0
        .size:           8
        .value_kind:     global_buffer
      - .offset:         8
        .size:           8
        .value_kind:     by_value
      - .actual_access:  read_only
        .address_space:  global
        .offset:         16
        .size:           8
        .value_kind:     global_buffer
      - .actual_access:  read_only
        .address_space:  global
        .offset:         24
        .size:           8
        .value_kind:     global_buffer
      - .offset:         32
        .size:           8
        .value_kind:     by_value
      - .actual_access:  read_only
        .address_space:  global
        .offset:         40
        .size:           8
        .value_kind:     global_buffer
      - .actual_access:  read_only
        .address_space:  global
        .offset:         48
        .size:           8
        .value_kind:     global_buffer
      - .offset:         56
        .size:           4
        .value_kind:     by_value
      - .actual_access:  read_only
        .address_space:  global
        .offset:         64
        .size:           8
        .value_kind:     global_buffer
      - .actual_access:  read_only
        .address_space:  global
        .offset:         72
        .size:           8
        .value_kind:     global_buffer
      - .address_space:  global
        .offset:         80
        .size:           8
        .value_kind:     global_buffer
    .group_segment_fixed_size: 0
    .kernarg_segment_align: 8
    .kernarg_segment_size: 88
    .language:       OpenCL C
    .language_version:
      - 2
      - 0
    .max_flat_workgroup_size: 208
    .name:           fft_rtc_fwd_len1664_factors_13_2_2_4_2_2_2_wgs_208_tpt_208_halfLds_dp_ip_CI_unitstride_sbrr_C2R_dirReg
    .private_segment_fixed_size: 0
    .sgpr_count:     44
    .sgpr_spill_count: 0
    .symbol:         fft_rtc_fwd_len1664_factors_13_2_2_4_2_2_2_wgs_208_tpt_208_halfLds_dp_ip_CI_unitstride_sbrr_C2R_dirReg.kd
    .uniform_work_group_size: 1
    .uses_dynamic_stack: false
    .vgpr_count:     239
    .vgpr_spill_count: 0
    .wavefront_size: 32
    .workgroup_processor_mode: 1
amdhsa.target:   amdgcn-amd-amdhsa--gfx1201
amdhsa.version:
  - 1
  - 2
...

	.end_amdgpu_metadata
